;; amdgpu-corpus repo=zjin-lcf/HeCBench kind=compiled arch=gfx1100 opt=O3
	.text
	.amdgcn_target "amdgcn-amd-amdhsa--gfx1100"
	.amdhsa_code_object_version 6
	.protected	_Z15test_keystreamsPKcS0_S0_PKhPhS3_S3_S3_iii ; -- Begin function _Z15test_keystreamsPKcS0_S0_PKhPhS3_S3_S3_iii
	.globl	_Z15test_keystreamsPKcS0_S0_PKhPhS3_S3_S3_iii
	.p2align	8
	.type	_Z15test_keystreamsPKcS0_S0_PKhPhS3_S3_S3_iii,@function
_Z15test_keystreamsPKcS0_S0_PKhPhS3_S3_S3_iii: ; @_Z15test_keystreamsPKcS0_S0_PKhPhS3_S3_S3_iii
; %bb.0:
	s_clause 0x2
	s_load_b128 s[12:15], s[0:1], 0x40
	s_load_b128 s[8:11], s[0:1], 0x18
	s_load_b64 s[16:17], s[0:1], 0x28
	v_mov_b32_e32 v5, v0
	s_waitcnt lgkmcnt(0)
	s_mov_b32 s15, exec_lo
	s_lshr_b32 s2, s12, 31
	s_delay_alu instid0(SALU_CYCLE_1) | instskip(NEXT) | instid1(SALU_CYCLE_1)
	s_add_i32 s2, s12, s2
	s_ashr_i32 s12, s2, 1
	s_delay_alu instid0(SALU_CYCLE_1)
	v_cmpx_gt_i32_e64 s12, v0
	s_cbranch_execz .LBB0_8
; %bb.1:
	s_clause 0x1
	s_load_b32 s3, s[0:1], 0x5c
	s_load_b64 s[18:19], s[0:1], 0x0
	s_mov_b32 s22, 0
	s_waitcnt lgkmcnt(0)
	s_and_b32 s20, s3, 0xffff
	s_delay_alu instid0(SALU_CYCLE_1) | instskip(SKIP_2) | instid1(VALU_DEP_2)
	v_cvt_f32_u32_e32 v1, s20
	s_sub_i32 s2, 0, s20
	v_add_nc_u32_e32 v3, s20, v0
	v_rcp_iflag_f32_e32 v1, v1
	s_delay_alu instid0(VALU_DEP_1) | instskip(SKIP_3) | instid1(VALU_DEP_1)
	v_cmp_gt_i32_e32 vcc_lo, s12, v3
	v_max_i32_e32 v4, s12, v3
	s_waitcnt_depctr 0xfff
	v_mul_f32_e32 v1, 0x4f7ffffe, v1
	v_cvt_u32_f32_e32 v1, v1
	s_delay_alu instid0(VALU_DEP_1) | instskip(SKIP_1) | instid1(VALU_DEP_1)
	v_mul_lo_u32 v2, s2, v1
	v_add_co_ci_u32_e64 v3, s2, s20, v0, vcc_lo
	v_sub_nc_u32_e32 v3, v4, v3
	s_delay_alu instid0(VALU_DEP_3) | instskip(NEXT) | instid1(VALU_DEP_1)
	v_mul_hi_u32 v2, v1, v2
	v_add_nc_u32_e32 v1, v1, v2
	s_delay_alu instid0(VALU_DEP_1) | instskip(NEXT) | instid1(VALU_DEP_1)
	v_mul_hi_u32 v1, v3, v1
	v_mul_lo_u32 v2, v1, s20
	s_delay_alu instid0(VALU_DEP_1) | instskip(SKIP_1) | instid1(VALU_DEP_2)
	v_sub_nc_u32_e32 v2, v3, v2
	v_add_nc_u32_e32 v3, 1, v1
	v_subrev_nc_u32_e32 v4, s20, v2
	v_cmp_le_u32_e64 s2, s20, v2
	s_delay_alu instid0(VALU_DEP_1) | instskip(NEXT) | instid1(VALU_DEP_3)
	v_cndmask_b32_e64 v1, v1, v3, s2
	v_cndmask_b32_e64 v2, v2, v4, s2
	s_delay_alu instid0(VALU_DEP_2) | instskip(NEXT) | instid1(VALU_DEP_2)
	v_add_nc_u32_e32 v3, 1, v1
	v_cmp_le_u32_e64 s2, s20, v2
	s_delay_alu instid0(VALU_DEP_1) | instskip(SKIP_2) | instid1(VALU_DEP_3)
	v_cndmask_b32_e64 v1, v1, v3, s2
	v_cmp_eq_u16_e64 s2, s3, 1
	v_mov_b32_e32 v3, v5
	v_add_co_ci_u32_e32 v6, vcc_lo, 1, v1, vcc_lo
	s_delay_alu instid0(VALU_DEP_1) | instskip(NEXT) | instid1(VALU_DEP_4)
	v_cmp_lt_u32_e32 vcc_lo, 3, v6
	s_and_b32 s3, vcc_lo, s2
	s_mov_b32 s2, -1
	s_and_saveexec_b32 s21, s3
	s_cbranch_execz .LBB0_5
; %bb.2:
	v_dual_mov_b32 v8, v5 :: v_dual_and_b32 v7, -4, v6
	v_add_nc_u32_e32 v3, 3, v0
	v_add_nc_u32_e32 v2, 2, v0
	;; [unrolled: 1-line block ×3, first 2 shown]
	s_delay_alu instid0(VALU_DEP_4) | instskip(NEXT) | instid1(VALU_DEP_4)
	v_mov_b32_e32 v9, v7
	v_mov_b32_e32 v4, v3
	s_delay_alu instid0(VALU_DEP_4) | instskip(NEXT) | instid1(VALU_DEP_4)
	v_mov_b32_e32 v3, v2
	v_mov_b32_e32 v2, v1
	v_mov_b32_e32 v1, v0
.LBB0_3:                                ; =>This Inner Loop Header: Depth=1
	s_delay_alu instid0(VALU_DEP_1) | instskip(NEXT) | instid1(VALU_DEP_3)
	v_lshlrev_b32_e32 v18, 1, v1
	v_lshlrev_b32_e32 v21, 1, v2
	;; [unrolled: 1-line block ×4, first 2 shown]
	v_add_nc_u32_e32 v9, -4, v9
	v_add_co_u32 v10, s2, s18, v18
	s_delay_alu instid0(VALU_DEP_1) | instskip(SKIP_1) | instid1(VALU_DEP_1)
	v_add_co_ci_u32_e64 v11, null, s19, 0, s2
	v_add_co_u32 v12, s2, s18, v21
	v_add_co_ci_u32_e64 v13, null, s19, 0, s2
	v_add_co_u32 v14, s2, s18, v20
	s_delay_alu instid0(VALU_DEP_1) | instskip(SKIP_1) | instid1(VALU_DEP_1)
	v_add_co_ci_u32_e64 v15, null, s19, 0, s2
	v_add_co_u32 v16, s2, s18, v19
	v_add_co_ci_u32_e64 v17, null, s19, 0, s2
	v_or_b32_e32 v18, 1, v18
	v_or_b32_e32 v22, 1, v19
	;; [unrolled: 1-line block ×4, first 2 shown]
	global_load_i8 v24, v[16:17], off
	v_add_co_u32 v16, s2, s18, v18
	s_delay_alu instid0(VALU_DEP_1) | instskip(SKIP_1) | instid1(VALU_DEP_1)
	v_add_co_ci_u32_e64 v17, null, s19, 0, s2
	v_add_co_u32 v18, s2, s18, v19
	v_add_co_ci_u32_e64 v19, null, s19, 0, s2
	v_add_co_u32 v20, s2, s18, v20
	s_delay_alu instid0(VALU_DEP_1) | instskip(SKIP_1) | instid1(VALU_DEP_1)
	v_add_co_ci_u32_e64 v21, null, s19, 0, s2
	v_add_co_u32 v22, s2, s18, v22
	v_add_co_ci_u32_e64 v23, null, s19, 0, s2
	s_clause 0x6
	global_load_i8 v16, v[16:17], off
	global_load_i8 v14, v[14:15], off
	;; [unrolled: 1-line block ×7, first 2 shown]
	v_add_nc_u32_e32 v4, 4, v4
	v_add_nc_u32_e32 v3, 4, v3
	;; [unrolled: 1-line block ×4, first 2 shown]
	s_waitcnt vmcnt(7)
	v_bfe_i32 v17, v24, 0, 16
	s_delay_alu instid0(VALU_DEP_1)
	v_ashrrev_i32_e32 v18, 31, v17
	s_waitcnt vmcnt(6)
	v_bfe_i32 v16, v16, 0, 16
	s_waitcnt vmcnt(5)
	v_bfe_i32 v14, v14, 0, 16
	s_waitcnt vmcnt(4)
	v_bfe_i32 v12, v12, 0, 16
	s_waitcnt vmcnt(3)
	v_bfe_i32 v19, v10, 0, 16
	s_waitcnt vmcnt(2)
	v_bfe_i32 v21, v11, 0, 16
	s_waitcnt vmcnt(1)
	v_bfe_i32 v13, v13, 0, 16
	s_waitcnt vmcnt(0)
	v_bfe_i32 v15, v15, 0, 16
	v_add_co_u32 v10, vcc_lo, s8, v17
	v_ashrrev_i32_e32 v17, 31, v14
	v_ashrrev_i32_e32 v23, 31, v12
	;; [unrolled: 1-line block ×3, first 2 shown]
	v_add_co_u32 v12, s2, s8, v12
	v_add_co_u32 v14, s3, s8, v14
	v_ashrrev_i32_e32 v28, 31, v15
	v_ashrrev_i32_e32 v29, 31, v16
	v_add_co_u32 v24, s7, s8, v19
	v_add_co_ci_u32_e32 v11, vcc_lo, s9, v18, vcc_lo
	v_ashrrev_i32_e32 v26, 31, v21
	v_ashrrev_i32_e32 v27, 31, v13
	v_add_co_u32 v18, s4, s8, v15
	v_add_co_u32 v20, s5, s8, v13
	v_add_co_ci_u32_e64 v13, s2, s9, v23, s2
	v_add_co_ci_u32_e64 v15, s2, s9, v17, s3
	v_add_co_u32 v16, vcc_lo, s8, v16
	v_add_co_ci_u32_e64 v25, s7, s9, v25, s7
	v_add_co_u32 v22, s6, s8, v21
	v_add_co_ci_u32_e32 v17, vcc_lo, s9, v29, vcc_lo
	v_add_co_ci_u32_e64 v19, vcc_lo, s9, v28, s4
	v_add_co_ci_u32_e64 v21, vcc_lo, s9, v27, s5
	;; [unrolled: 1-line block ×3, first 2 shown]
	s_clause 0x7
	global_load_u8 v14, v[14:15], off
	global_load_u8 v15, v[24:25], off
	;; [unrolled: 1-line block ×8, first 2 shown]
	v_cmp_eq_u32_e32 vcc_lo, 0, v9
	s_or_b32 s22, vcc_lo, s22
	s_waitcnt vmcnt(7)
	v_lshlrev_b16 v14, 4, v14
	s_waitcnt vmcnt(6)
	v_lshlrev_b16 v15, 4, v15
	;; [unrolled: 2-line block ×6, first 2 shown]
	v_and_b32_e32 v15, 0xf0, v15
	v_and_b32_e32 v14, 0xf0, v14
	v_or_b32_e32 v12, v12, v13
	s_delay_alu instid0(VALU_DEP_4) | instskip(SKIP_4) | instid1(VALU_DEP_2)
	v_or_b32_e32 v10, v10, v11
	s_waitcnt vmcnt(1)
	v_or_b32_e32 v11, v16, v15
	s_waitcnt vmcnt(0)
	v_or_b32_e32 v13, v17, v14
	v_or_b32_e32 v11, v11, v12
	s_delay_alu instid0(VALU_DEP_2) | instskip(NEXT) | instid1(VALU_DEP_2)
	v_or_b32_e32 v10, v13, v10
	v_and_b32_e32 v11, 0xffff, v11
	s_delay_alu instid0(VALU_DEP_2) | instskip(NEXT) | instid1(VALU_DEP_1)
	v_lshlrev_b32_e32 v10, 16, v10
	v_or_b32_e32 v10, v11, v10
	global_store_b32 v8, v10, s[10:11]
	v_add_nc_u32_e32 v8, 4, v8
	s_and_not1_b32 exec_lo, exec_lo, s22
	s_cbranch_execnz .LBB0_3
; %bb.4:
	s_or_b32 exec_lo, exec_lo, s22
	v_cmp_ne_u32_e32 vcc_lo, v6, v7
	v_add_nc_u32_e32 v3, v0, v7
	s_or_not1_b32 s2, vcc_lo, exec_lo
.LBB0_5:
	s_or_b32 exec_lo, exec_lo, s21
	s_delay_alu instid0(SALU_CYCLE_1)
	s_and_b32 exec_lo, exec_lo, s2
	s_cbranch_execz .LBB0_8
; %bb.6:
	v_dual_mov_b32 v4, 0 :: v_dual_lshlrev_b32 v1, 1, v3
	s_mov_b32 s3, 0
	s_lshl_b32 s4, s20, 1
	s_delay_alu instid0(VALU_DEP_1) | instskip(NEXT) | instid1(VALU_DEP_1)
	v_add_co_u32 v1, s2, v1, s18
	v_add_co_ci_u32_e64 v2, null, 0, s19, s2
	s_delay_alu instid0(VALU_DEP_2) | instskip(NEXT) | instid1(VALU_DEP_2)
	v_add_co_u32 v1, vcc_lo, v1, 1
	v_add_co_ci_u32_e32 v2, vcc_lo, 0, v2, vcc_lo
	s_set_inst_prefetch_distance 0x1
	.p2align	6
.LBB0_7:                                ; =>This Inner Loop Header: Depth=1
	global_load_u16 v6, v[1:2], off offset:-1
	s_waitcnt vmcnt(0)
	v_lshrrev_b16 v7, 8, v6
	v_bfe_i32 v6, v6, 0, 8
	s_delay_alu instid0(VALU_DEP_2) | instskip(NEXT) | instid1(VALU_DEP_2)
	v_bfe_i32 v8, v7, 0, 8
	v_ashrrev_i32_e32 v7, 31, v6
	v_add_co_u32 v6, vcc_lo, s8, v6
	s_delay_alu instid0(VALU_DEP_3) | instskip(NEXT) | instid1(VALU_DEP_3)
	v_ashrrev_i32_e32 v9, 31, v8
	v_add_co_ci_u32_e32 v7, vcc_lo, s9, v7, vcc_lo
	v_add_co_u32 v8, vcc_lo, s8, v8
	s_delay_alu instid0(VALU_DEP_3)
	v_add_co_ci_u32_e32 v9, vcc_lo, s9, v9, vcc_lo
	s_clause 0x1
	global_load_u8 v10, v[6:7], off
	global_load_u8 v8, v[8:9], off
	v_add_co_u32 v6, vcc_lo, s10, v3
	v_add_co_ci_u32_e32 v7, vcc_lo, s11, v4, vcc_lo
	v_add_co_u32 v3, vcc_lo, v3, s20
	v_add_co_ci_u32_e32 v4, vcc_lo, 0, v4, vcc_lo
	v_add_co_u32 v1, vcc_lo, v1, s4
	s_delay_alu instid0(VALU_DEP_3) | instskip(SKIP_1) | instid1(VALU_DEP_2)
	v_cmp_le_i32_e64 s2, s12, v3
	v_add_co_ci_u32_e32 v2, vcc_lo, 0, v2, vcc_lo
	s_or_b32 s3, s2, s3
	s_waitcnt vmcnt(1)
	v_lshlrev_b16 v9, 4, v10
	s_waitcnt vmcnt(0)
	s_delay_alu instid0(VALU_DEP_1)
	v_or_b32_e32 v8, v8, v9
	global_store_b8 v[6:7], v8, off
	s_and_not1_b32 exec_lo, exec_lo, s3
	s_cbranch_execnz .LBB0_7
.LBB0_8:
	s_set_inst_prefetch_distance 0x2
	s_or_b32 exec_lo, exec_lo, s15
	s_lshr_b32 s2, s13, 31
	s_mov_b32 s18, exec_lo
	s_add_i32 s2, s13, s2
	s_delay_alu instid0(SALU_CYCLE_1) | instskip(NEXT) | instid1(SALU_CYCLE_1)
	s_ashr_i32 s15, s2, 1
	v_cmpx_gt_i32_e64 s15, v0
	s_cbranch_execz .LBB0_16
; %bb.9:
	s_clause 0x1
	s_load_b32 s3, s[0:1], 0x5c
	s_load_b64 s[12:13], s[0:1], 0x8
	s_mov_b32 s21, 0
	s_waitcnt lgkmcnt(0)
	s_and_b32 s19, s3, 0xffff
	s_delay_alu instid0(SALU_CYCLE_1) | instskip(SKIP_2) | instid1(VALU_DEP_2)
	v_cvt_f32_u32_e32 v1, s19
	s_sub_i32 s2, 0, s19
	v_add_nc_u32_e32 v3, s19, v0
	v_rcp_iflag_f32_e32 v1, v1
	s_delay_alu instid0(VALU_DEP_1) | instskip(SKIP_3) | instid1(VALU_DEP_1)
	v_cmp_gt_i32_e32 vcc_lo, s15, v3
	v_max_i32_e32 v4, s15, v3
	s_waitcnt_depctr 0xfff
	v_mul_f32_e32 v1, 0x4f7ffffe, v1
	v_cvt_u32_f32_e32 v1, v1
	s_delay_alu instid0(VALU_DEP_1) | instskip(SKIP_1) | instid1(VALU_DEP_1)
	v_mul_lo_u32 v2, s2, v1
	v_add_co_ci_u32_e64 v3, s2, s19, v0, vcc_lo
	v_sub_nc_u32_e32 v3, v4, v3
	s_delay_alu instid0(VALU_DEP_3) | instskip(NEXT) | instid1(VALU_DEP_1)
	v_mul_hi_u32 v2, v1, v2
	v_add_nc_u32_e32 v1, v1, v2
	s_delay_alu instid0(VALU_DEP_1) | instskip(NEXT) | instid1(VALU_DEP_1)
	v_mul_hi_u32 v1, v3, v1
	v_mul_lo_u32 v2, v1, s19
	s_delay_alu instid0(VALU_DEP_1) | instskip(SKIP_1) | instid1(VALU_DEP_2)
	v_sub_nc_u32_e32 v2, v3, v2
	v_add_nc_u32_e32 v3, 1, v1
	v_subrev_nc_u32_e32 v4, s19, v2
	v_cmp_le_u32_e64 s2, s19, v2
	s_delay_alu instid0(VALU_DEP_1) | instskip(NEXT) | instid1(VALU_DEP_3)
	v_cndmask_b32_e64 v1, v1, v3, s2
	v_cndmask_b32_e64 v2, v2, v4, s2
	s_delay_alu instid0(VALU_DEP_2) | instskip(NEXT) | instid1(VALU_DEP_2)
	v_add_nc_u32_e32 v3, 1, v1
	v_cmp_le_u32_e64 s2, s19, v2
	s_delay_alu instid0(VALU_DEP_1) | instskip(SKIP_2) | instid1(VALU_DEP_3)
	v_cndmask_b32_e64 v1, v1, v3, s2
	v_cmp_eq_u16_e64 s2, s3, 1
	v_mov_b32_e32 v3, v5
	v_add_co_ci_u32_e32 v6, vcc_lo, 1, v1, vcc_lo
	s_delay_alu instid0(VALU_DEP_1) | instskip(NEXT) | instid1(VALU_DEP_4)
	v_cmp_lt_u32_e32 vcc_lo, 3, v6
	s_and_b32 s3, vcc_lo, s2
	s_mov_b32 s2, -1
	s_and_saveexec_b32 s20, s3
	s_cbranch_execz .LBB0_13
; %bb.10:
	v_dual_mov_b32 v8, v5 :: v_dual_and_b32 v7, -4, v6
	v_add_nc_u32_e32 v3, 3, v0
	v_add_nc_u32_e32 v2, 2, v0
	;; [unrolled: 1-line block ×3, first 2 shown]
	s_delay_alu instid0(VALU_DEP_4) | instskip(NEXT) | instid1(VALU_DEP_4)
	v_mov_b32_e32 v9, v7
	v_mov_b32_e32 v4, v3
	s_delay_alu instid0(VALU_DEP_4) | instskip(NEXT) | instid1(VALU_DEP_4)
	v_mov_b32_e32 v3, v2
	v_mov_b32_e32 v2, v1
	;; [unrolled: 1-line block ×3, first 2 shown]
.LBB0_11:                               ; =>This Inner Loop Header: Depth=1
	s_delay_alu instid0(VALU_DEP_1) | instskip(NEXT) | instid1(VALU_DEP_3)
	v_lshlrev_b32_e32 v18, 1, v1
	v_lshlrev_b32_e32 v21, 1, v2
	;; [unrolled: 1-line block ×4, first 2 shown]
	v_add_nc_u32_e32 v9, -4, v9
	v_add_co_u32 v10, s2, s12, v18
	s_delay_alu instid0(VALU_DEP_1) | instskip(SKIP_1) | instid1(VALU_DEP_1)
	v_add_co_ci_u32_e64 v11, null, s13, 0, s2
	v_add_co_u32 v12, s2, s12, v21
	v_add_co_ci_u32_e64 v13, null, s13, 0, s2
	v_add_co_u32 v14, s2, s12, v20
	s_delay_alu instid0(VALU_DEP_1) | instskip(SKIP_1) | instid1(VALU_DEP_1)
	v_add_co_ci_u32_e64 v15, null, s13, 0, s2
	v_add_co_u32 v16, s2, s12, v19
	v_add_co_ci_u32_e64 v17, null, s13, 0, s2
	v_or_b32_e32 v18, 1, v18
	v_or_b32_e32 v22, 1, v19
	;; [unrolled: 1-line block ×4, first 2 shown]
	global_load_i8 v24, v[16:17], off
	v_add_co_u32 v16, s2, s12, v18
	s_delay_alu instid0(VALU_DEP_1) | instskip(SKIP_1) | instid1(VALU_DEP_1)
	v_add_co_ci_u32_e64 v17, null, s13, 0, s2
	v_add_co_u32 v18, s2, s12, v19
	v_add_co_ci_u32_e64 v19, null, s13, 0, s2
	v_add_co_u32 v20, s2, s12, v20
	s_delay_alu instid0(VALU_DEP_1) | instskip(SKIP_1) | instid1(VALU_DEP_1)
	v_add_co_ci_u32_e64 v21, null, s13, 0, s2
	v_add_co_u32 v22, s2, s12, v22
	v_add_co_ci_u32_e64 v23, null, s13, 0, s2
	s_clause 0x6
	global_load_i8 v16, v[16:17], off
	global_load_i8 v14, v[14:15], off
	;; [unrolled: 1-line block ×7, first 2 shown]
	v_add_nc_u32_e32 v4, 4, v4
	v_add_nc_u32_e32 v3, 4, v3
	;; [unrolled: 1-line block ×4, first 2 shown]
	s_waitcnt vmcnt(7)
	v_bfe_i32 v17, v24, 0, 16
	s_delay_alu instid0(VALU_DEP_1)
	v_ashrrev_i32_e32 v18, 31, v17
	s_waitcnt vmcnt(6)
	v_bfe_i32 v16, v16, 0, 16
	s_waitcnt vmcnt(5)
	v_bfe_i32 v14, v14, 0, 16
	;; [unrolled: 2-line block ×7, first 2 shown]
	v_add_co_u32 v10, vcc_lo, s8, v17
	v_ashrrev_i32_e32 v17, 31, v14
	v_ashrrev_i32_e32 v23, 31, v12
	;; [unrolled: 1-line block ×3, first 2 shown]
	v_add_co_u32 v12, s2, s8, v12
	v_add_co_u32 v14, s3, s8, v14
	v_ashrrev_i32_e32 v28, 31, v15
	v_ashrrev_i32_e32 v29, 31, v16
	v_add_co_u32 v24, s7, s8, v19
	v_add_co_ci_u32_e32 v11, vcc_lo, s9, v18, vcc_lo
	v_ashrrev_i32_e32 v26, 31, v21
	v_ashrrev_i32_e32 v27, 31, v13
	v_add_co_u32 v18, s4, s8, v15
	v_add_co_u32 v20, s5, s8, v13
	v_add_co_ci_u32_e64 v13, s2, s9, v23, s2
	v_add_co_ci_u32_e64 v15, s2, s9, v17, s3
	v_add_co_u32 v16, vcc_lo, s8, v16
	v_add_co_ci_u32_e64 v25, s7, s9, v25, s7
	v_add_co_u32 v22, s6, s8, v21
	v_add_co_ci_u32_e32 v17, vcc_lo, s9, v29, vcc_lo
	v_add_co_ci_u32_e64 v19, vcc_lo, s9, v28, s4
	v_add_co_ci_u32_e64 v21, vcc_lo, s9, v27, s5
	v_add_co_ci_u32_e64 v23, vcc_lo, s9, v26, s6
	s_clause 0x7
	global_load_u8 v14, v[14:15], off
	global_load_u8 v15, v[24:25], off
	;; [unrolled: 1-line block ×8, first 2 shown]
	v_cmp_eq_u32_e32 vcc_lo, 0, v9
	s_or_b32 s21, vcc_lo, s21
	s_waitcnt vmcnt(7)
	v_lshlrev_b16 v14, 4, v14
	s_waitcnt vmcnt(6)
	v_lshlrev_b16 v15, 4, v15
	;; [unrolled: 2-line block ×6, first 2 shown]
	v_and_b32_e32 v15, 0xf0, v15
	v_and_b32_e32 v14, 0xf0, v14
	v_or_b32_e32 v12, v12, v13
	s_delay_alu instid0(VALU_DEP_4) | instskip(SKIP_4) | instid1(VALU_DEP_2)
	v_or_b32_e32 v10, v10, v11
	s_waitcnt vmcnt(1)
	v_or_b32_e32 v11, v16, v15
	s_waitcnt vmcnt(0)
	v_or_b32_e32 v13, v17, v14
	v_or_b32_e32 v11, v11, v12
	s_delay_alu instid0(VALU_DEP_2) | instskip(NEXT) | instid1(VALU_DEP_2)
	v_or_b32_e32 v10, v13, v10
	v_and_b32_e32 v11, 0xffff, v11
	s_delay_alu instid0(VALU_DEP_2) | instskip(NEXT) | instid1(VALU_DEP_1)
	v_lshlrev_b32_e32 v10, 16, v10
	v_or_b32_e32 v10, v11, v10
	global_store_b32 v8, v10, s[16:17]
	v_add_nc_u32_e32 v8, 4, v8
	s_and_not1_b32 exec_lo, exec_lo, s21
	s_cbranch_execnz .LBB0_11
; %bb.12:
	s_or_b32 exec_lo, exec_lo, s21
	v_cmp_ne_u32_e32 vcc_lo, v6, v7
	v_add_nc_u32_e32 v3, v0, v7
	s_or_not1_b32 s2, vcc_lo, exec_lo
.LBB0_13:
	s_or_b32 exec_lo, exec_lo, s20
	s_delay_alu instid0(SALU_CYCLE_1)
	s_and_b32 exec_lo, exec_lo, s2
	s_cbranch_execz .LBB0_16
; %bb.14:
	v_dual_mov_b32 v4, 0 :: v_dual_lshlrev_b32 v1, 1, v3
	s_mov_b32 s3, 0
	s_lshl_b32 s4, s19, 1
	s_delay_alu instid0(VALU_DEP_1) | instskip(NEXT) | instid1(VALU_DEP_1)
	v_add_co_u32 v1, s2, v1, s12
	v_add_co_ci_u32_e64 v2, null, 0, s13, s2
	s_delay_alu instid0(VALU_DEP_2) | instskip(NEXT) | instid1(VALU_DEP_2)
	v_add_co_u32 v1, vcc_lo, v1, 1
	v_add_co_ci_u32_e32 v2, vcc_lo, 0, v2, vcc_lo
	s_set_inst_prefetch_distance 0x1
	.p2align	6
.LBB0_15:                               ; =>This Inner Loop Header: Depth=1
	global_load_u16 v6, v[1:2], off offset:-1
	s_waitcnt vmcnt(0)
	v_lshrrev_b16 v7, 8, v6
	v_bfe_i32 v6, v6, 0, 8
	s_delay_alu instid0(VALU_DEP_2) | instskip(NEXT) | instid1(VALU_DEP_2)
	v_bfe_i32 v8, v7, 0, 8
	v_ashrrev_i32_e32 v7, 31, v6
	v_add_co_u32 v6, vcc_lo, s8, v6
	s_delay_alu instid0(VALU_DEP_3) | instskip(NEXT) | instid1(VALU_DEP_3)
	v_ashrrev_i32_e32 v9, 31, v8
	v_add_co_ci_u32_e32 v7, vcc_lo, s9, v7, vcc_lo
	v_add_co_u32 v8, vcc_lo, s8, v8
	s_delay_alu instid0(VALU_DEP_3)
	v_add_co_ci_u32_e32 v9, vcc_lo, s9, v9, vcc_lo
	s_clause 0x1
	global_load_u8 v10, v[6:7], off
	global_load_u8 v8, v[8:9], off
	v_add_co_u32 v6, vcc_lo, s16, v3
	v_add_co_ci_u32_e32 v7, vcc_lo, s17, v4, vcc_lo
	v_add_co_u32 v3, vcc_lo, v3, s19
	v_add_co_ci_u32_e32 v4, vcc_lo, 0, v4, vcc_lo
	v_add_co_u32 v1, vcc_lo, v1, s4
	s_delay_alu instid0(VALU_DEP_3) | instskip(SKIP_1) | instid1(VALU_DEP_2)
	v_cmp_le_i32_e64 s2, s15, v3
	v_add_co_ci_u32_e32 v2, vcc_lo, 0, v2, vcc_lo
	s_or_b32 s3, s2, s3
	s_waitcnt vmcnt(1)
	v_lshlrev_b16 v9, 4, v10
	s_waitcnt vmcnt(0)
	s_delay_alu instid0(VALU_DEP_1)
	v_or_b32_e32 v8, v8, v9
	global_store_b8 v[6:7], v8, off
	s_and_not1_b32 exec_lo, exec_lo, s3
	s_cbranch_execnz .LBB0_15
.LBB0_16:
	s_set_inst_prefetch_distance 0x2
	s_or_b32 exec_lo, exec_lo, s18
	s_lshr_b32 s2, s14, 31
	s_mov_b32 s13, exec_lo
	s_add_i32 s2, s14, s2
	s_delay_alu instid0(SALU_CYCLE_1) | instskip(NEXT) | instid1(SALU_CYCLE_1)
	s_ashr_i32 s12, s2, 1
	v_cmpx_gt_i32_e64 s12, v0
	s_cbranch_execz .LBB0_24
; %bb.17:
	s_clause 0x2
	s_load_b32 s3, s[0:1], 0x5c
	s_load_b64 s[20:21], s[0:1], 0x10
	s_load_b64 s[18:19], s[0:1], 0x30
	s_mov_b32 s23, 0
	s_waitcnt lgkmcnt(0)
	s_and_b32 s15, s3, 0xffff
	s_delay_alu instid0(SALU_CYCLE_1) | instskip(SKIP_2) | instid1(VALU_DEP_2)
	v_cvt_f32_u32_e32 v1, s15
	s_sub_i32 s2, 0, s15
	v_add_nc_u32_e32 v3, s15, v0
	v_rcp_iflag_f32_e32 v1, v1
	s_delay_alu instid0(VALU_DEP_1) | instskip(SKIP_3) | instid1(VALU_DEP_1)
	v_cmp_gt_i32_e32 vcc_lo, s12, v3
	v_max_i32_e32 v4, s12, v3
	s_waitcnt_depctr 0xfff
	v_mul_f32_e32 v1, 0x4f7ffffe, v1
	v_cvt_u32_f32_e32 v1, v1
	s_delay_alu instid0(VALU_DEP_1) | instskip(SKIP_1) | instid1(VALU_DEP_1)
	v_mul_lo_u32 v2, s2, v1
	v_add_co_ci_u32_e64 v3, s2, s15, v0, vcc_lo
	v_sub_nc_u32_e32 v3, v4, v3
	s_delay_alu instid0(VALU_DEP_3) | instskip(NEXT) | instid1(VALU_DEP_1)
	v_mul_hi_u32 v2, v1, v2
	v_add_nc_u32_e32 v1, v1, v2
	s_delay_alu instid0(VALU_DEP_1) | instskip(NEXT) | instid1(VALU_DEP_1)
	v_mul_hi_u32 v1, v3, v1
	v_mul_lo_u32 v2, v1, s15
	s_delay_alu instid0(VALU_DEP_1) | instskip(SKIP_1) | instid1(VALU_DEP_2)
	v_sub_nc_u32_e32 v2, v3, v2
	v_add_nc_u32_e32 v3, 1, v1
	v_subrev_nc_u32_e32 v4, s15, v2
	v_cmp_le_u32_e64 s2, s15, v2
	s_delay_alu instid0(VALU_DEP_1) | instskip(NEXT) | instid1(VALU_DEP_3)
	v_cndmask_b32_e64 v1, v1, v3, s2
	v_cndmask_b32_e64 v2, v2, v4, s2
	s_delay_alu instid0(VALU_DEP_2) | instskip(NEXT) | instid1(VALU_DEP_2)
	v_add_nc_u32_e32 v3, 1, v1
	v_cmp_le_u32_e64 s2, s15, v2
	s_delay_alu instid0(VALU_DEP_1) | instskip(SKIP_1) | instid1(VALU_DEP_2)
	v_cndmask_b32_e64 v1, v1, v3, s2
	v_cmp_eq_u16_e64 s2, s3, 1
	v_add_co_ci_u32_e32 v6, vcc_lo, 1, v1, vcc_lo
	s_delay_alu instid0(VALU_DEP_1) | instskip(NEXT) | instid1(VALU_DEP_3)
	v_cmp_lt_u32_e32 vcc_lo, 3, v6
	s_and_b32 s3, vcc_lo, s2
	s_mov_b32 s2, -1
	s_and_saveexec_b32 s22, s3
	s_cbranch_execz .LBB0_21
; %bb.18:
	v_add_nc_u32_e32 v3, 3, v0
	v_add_nc_u32_e32 v2, 2, v0
	;; [unrolled: 1-line block ×3, first 2 shown]
	s_delay_alu instid0(VALU_DEP_3) | instskip(NEXT) | instid1(VALU_DEP_3)
	v_dual_mov_b32 v4, v3 :: v_dual_and_b32 v7, -4, v6
	v_mov_b32_e32 v3, v2
	s_delay_alu instid0(VALU_DEP_3) | instskip(NEXT) | instid1(VALU_DEP_3)
	v_mov_b32_e32 v2, v1
	v_dual_mov_b32 v8, v7 :: v_dual_mov_b32 v1, v0
.LBB0_19:                               ; =>This Inner Loop Header: Depth=1
	s_delay_alu instid0(VALU_DEP_1) | instskip(NEXT) | instid1(VALU_DEP_3)
	v_lshlrev_b32_e32 v17, 1, v1
	v_lshlrev_b32_e32 v20, 1, v2
	;; [unrolled: 1-line block ×4, first 2 shown]
	v_add_nc_u32_e32 v8, -4, v8
	v_add_co_u32 v9, s2, s20, v17
	s_delay_alu instid0(VALU_DEP_1) | instskip(SKIP_1) | instid1(VALU_DEP_1)
	v_add_co_ci_u32_e64 v10, null, s21, 0, s2
	v_add_co_u32 v11, s2, s20, v20
	v_add_co_ci_u32_e64 v12, null, s21, 0, s2
	v_add_co_u32 v13, s2, s20, v19
	s_delay_alu instid0(VALU_DEP_1) | instskip(SKIP_1) | instid1(VALU_DEP_1)
	v_add_co_ci_u32_e64 v14, null, s21, 0, s2
	v_add_co_u32 v15, s2, s20, v18
	v_add_co_ci_u32_e64 v16, null, s21, 0, s2
	v_or_b32_e32 v17, 1, v17
	v_or_b32_e32 v21, 1, v18
	;; [unrolled: 1-line block ×4, first 2 shown]
	global_load_i8 v23, v[15:16], off
	v_add_co_u32 v15, s2, s20, v17
	s_delay_alu instid0(VALU_DEP_1) | instskip(SKIP_1) | instid1(VALU_DEP_1)
	v_add_co_ci_u32_e64 v16, null, s21, 0, s2
	v_add_co_u32 v17, s2, s20, v18
	v_add_co_ci_u32_e64 v18, null, s21, 0, s2
	v_add_co_u32 v19, s2, s20, v19
	s_delay_alu instid0(VALU_DEP_1) | instskip(SKIP_1) | instid1(VALU_DEP_1)
	v_add_co_ci_u32_e64 v20, null, s21, 0, s2
	v_add_co_u32 v21, s2, s20, v21
	v_add_co_ci_u32_e64 v22, null, s21, 0, s2
	s_clause 0x6
	global_load_i8 v15, v[15:16], off
	global_load_i8 v13, v[13:14], off
	;; [unrolled: 1-line block ×7, first 2 shown]
	v_add_nc_u32_e32 v4, 4, v4
	v_add_nc_u32_e32 v3, 4, v3
	;; [unrolled: 1-line block ×4, first 2 shown]
	s_waitcnt vmcnt(7)
	v_bfe_i32 v16, v23, 0, 16
	s_delay_alu instid0(VALU_DEP_1)
	v_ashrrev_i32_e32 v17, 31, v16
	s_waitcnt vmcnt(6)
	v_bfe_i32 v15, v15, 0, 16
	s_waitcnt vmcnt(5)
	v_bfe_i32 v13, v13, 0, 16
	;; [unrolled: 2-line block ×7, first 2 shown]
	v_add_co_u32 v9, vcc_lo, s8, v16
	v_ashrrev_i32_e32 v16, 31, v13
	v_ashrrev_i32_e32 v22, 31, v11
	;; [unrolled: 1-line block ×3, first 2 shown]
	v_add_co_u32 v11, s2, s8, v11
	v_add_co_u32 v13, s3, s8, v13
	v_ashrrev_i32_e32 v27, 31, v14
	v_ashrrev_i32_e32 v28, 31, v15
	v_add_co_u32 v23, s7, s8, v18
	v_add_co_ci_u32_e32 v10, vcc_lo, s9, v17, vcc_lo
	v_ashrrev_i32_e32 v25, 31, v20
	v_ashrrev_i32_e32 v26, 31, v12
	v_add_co_u32 v17, s4, s8, v14
	v_add_co_u32 v19, s5, s8, v12
	v_add_co_ci_u32_e64 v12, s2, s9, v22, s2
	v_add_co_ci_u32_e64 v14, s2, s9, v16, s3
	v_add_co_u32 v15, vcc_lo, s8, v15
	v_add_co_ci_u32_e64 v24, s7, s9, v24, s7
	v_add_co_u32 v21, s6, s8, v20
	v_add_co_ci_u32_e32 v16, vcc_lo, s9, v28, vcc_lo
	v_add_co_ci_u32_e64 v18, vcc_lo, s9, v27, s4
	v_add_co_ci_u32_e64 v20, vcc_lo, s9, v26, s5
	;; [unrolled: 1-line block ×3, first 2 shown]
	s_clause 0x7
	global_load_u8 v13, v[13:14], off
	global_load_u8 v14, v[23:24], off
	;; [unrolled: 1-line block ×8, first 2 shown]
	v_cmp_eq_u32_e32 vcc_lo, 0, v8
	s_or_b32 s23, vcc_lo, s23
	s_waitcnt vmcnt(7)
	v_lshlrev_b16 v13, 4, v13
	s_waitcnt vmcnt(6)
	v_lshlrev_b16 v14, 4, v14
	;; [unrolled: 2-line block ×6, first 2 shown]
	v_and_b32_e32 v14, 0xf0, v14
	v_and_b32_e32 v13, 0xf0, v13
	v_or_b32_e32 v11, v11, v12
	s_delay_alu instid0(VALU_DEP_4) | instskip(SKIP_4) | instid1(VALU_DEP_2)
	v_or_b32_e32 v9, v9, v10
	s_waitcnt vmcnt(1)
	v_or_b32_e32 v10, v15, v14
	s_waitcnt vmcnt(0)
	v_or_b32_e32 v12, v16, v13
	v_or_b32_e32 v10, v10, v11
	s_delay_alu instid0(VALU_DEP_2) | instskip(NEXT) | instid1(VALU_DEP_2)
	v_or_b32_e32 v9, v12, v9
	v_and_b32_e32 v10, 0xffff, v10
	s_delay_alu instid0(VALU_DEP_2) | instskip(NEXT) | instid1(VALU_DEP_1)
	v_lshlrev_b32_e32 v9, 16, v9
	v_or_b32_e32 v9, v10, v9
	global_store_b32 v5, v9, s[18:19]
	v_add_nc_u32_e32 v5, 4, v5
	s_and_not1_b32 exec_lo, exec_lo, s23
	s_cbranch_execnz .LBB0_19
; %bb.20:
	s_or_b32 exec_lo, exec_lo, s23
	v_cmp_ne_u32_e32 vcc_lo, v6, v7
	v_add_nc_u32_e32 v5, v0, v7
	s_or_not1_b32 s2, vcc_lo, exec_lo
.LBB0_21:
	s_or_b32 exec_lo, exec_lo, s22
	s_delay_alu instid0(SALU_CYCLE_1)
	s_and_b32 exec_lo, exec_lo, s2
	s_cbranch_execz .LBB0_24
; %bb.22:
	v_lshlrev_b32_e32 v1, 1, v5
	v_mov_b32_e32 v3, 0
	s_mov_b32 s3, 0
	s_lshl_b32 s4, s15, 1
	s_delay_alu instid0(VALU_DEP_2) | instskip(NEXT) | instid1(VALU_DEP_1)
	v_add_co_u32 v1, s2, v1, s20
	v_add_co_ci_u32_e64 v2, null, 0, s21, s2
	s_delay_alu instid0(VALU_DEP_2) | instskip(NEXT) | instid1(VALU_DEP_2)
	v_add_co_u32 v1, vcc_lo, v1, 1
	v_add_co_ci_u32_e32 v2, vcc_lo, 0, v2, vcc_lo
	s_set_inst_prefetch_distance 0x1
	.p2align	6
.LBB0_23:                               ; =>This Inner Loop Header: Depth=1
	global_load_u16 v4, v[1:2], off offset:-1
	s_waitcnt vmcnt(0)
	v_lshrrev_b16 v6, 8, v4
	v_bfe_i32 v4, v4, 0, 8
	s_delay_alu instid0(VALU_DEP_2) | instskip(NEXT) | instid1(VALU_DEP_2)
	v_bfe_i32 v8, v6, 0, 8
	v_ashrrev_i32_e32 v7, 31, v4
	v_add_co_u32 v6, vcc_lo, s8, v4
	s_delay_alu instid0(VALU_DEP_3) | instskip(NEXT) | instid1(VALU_DEP_3)
	v_ashrrev_i32_e32 v4, 31, v8
	v_add_co_ci_u32_e32 v7, vcc_lo, s9, v7, vcc_lo
	v_add_co_u32 v8, vcc_lo, s8, v8
	s_delay_alu instid0(VALU_DEP_3)
	v_add_co_ci_u32_e32 v9, vcc_lo, s9, v4, vcc_lo
	s_clause 0x1
	global_load_u8 v4, v[6:7], off
	global_load_u8 v8, v[8:9], off
	v_add_co_u32 v6, vcc_lo, s18, v5
	v_add_co_ci_u32_e32 v7, vcc_lo, s19, v3, vcc_lo
	v_add_co_u32 v5, vcc_lo, v5, s15
	v_add_co_ci_u32_e32 v3, vcc_lo, 0, v3, vcc_lo
	v_add_co_u32 v1, vcc_lo, v1, s4
	s_delay_alu instid0(VALU_DEP_3) | instskip(SKIP_1) | instid1(VALU_DEP_2)
	v_cmp_le_i32_e64 s2, s12, v5
	v_add_co_ci_u32_e32 v2, vcc_lo, 0, v2, vcc_lo
	s_or_b32 s3, s2, s3
	s_waitcnt vmcnt(1)
	v_lshlrev_b16 v4, 4, v4
	s_waitcnt vmcnt(0)
	s_delay_alu instid0(VALU_DEP_1)
	v_or_b32_e32 v4, v8, v4
	global_store_b8 v[6:7], v4, off
	s_and_not1_b32 exec_lo, exec_lo, s3
	s_cbranch_execnz .LBB0_23
.LBB0_24:
	s_set_inst_prefetch_distance 0x2
	s_or_b32 exec_lo, exec_lo, s13
	s_delay_alu instid0(SALU_CYCLE_1)
	s_mov_b32 s2, exec_lo
	v_cmpx_eq_u32_e32 0, v0
	s_cbranch_execz .LBB0_30
; %bb.25:
	s_add_i32 s2, s14, 1
	s_delay_alu instid0(SALU_CYCLE_1)
	s_cmp_lt_u32 s2, 3
	s_cbranch_scc1 .LBB0_30
; %bb.26:
	v_mov_b32_e32 v0, 0
	s_load_b64 s[0:1], s[0:1], 0x38
	s_ashr_i32 s13, s12, 31
	s_mov_b32 s4, 0
	s_mov_b64 s[2:3], 64
	s_clause 0x13
	global_load_u16 v1, v0, s[10:11] offset:10
	global_load_u16 v2, v0, s[10:11] offset:14
	;; [unrolled: 1-line block ×12, first 2 shown]
	global_load_u16 v13, v0, s[16:17]
	global_load_u16 v14, v0, s[10:11] offset:28
	global_load_u16 v15, v0, s[10:11] offset:24
	;; [unrolled: 1-line block ×4, first 2 shown]
	global_load_u16 v18, v0, s[10:11]
	global_load_u16 v19, v0, s[10:11] offset:16
	global_load_u16 v20, v0, s[10:11] offset:20
	s_waitcnt vmcnt(19)
	v_lshrrev_b16 v21, 8, v1
	v_and_b32_e32 v1, 0xff, v1
	s_waitcnt vmcnt(18)
	v_lshrrev_b16 v22, 8, v2
	v_and_b32_e32 v2, 0xff, v2
	;; [unrolled: 3-line block ×5, first 2 shown]
	v_lshlrev_b32_e32 v2, 16, v2
	v_lshlrev_b32_e32 v1, 16, v1
	;; [unrolled: 1-line block ×5, first 2 shown]
	s_waitcnt vmcnt(10)
	v_or_b32_e32 v2, v2, v7
	v_lshrrev_b16 v24, 8, v4
	v_and_b32_e32 v4, 0xff, v4
	v_lshlrev_b32_e32 v21, 24, v21
	v_lshlrev_b32_e32 v5, 16, v5
	;; [unrolled: 1-line block ×3, first 2 shown]
	s_waitcnt vmcnt(9)
	v_or_b32_e32 v7, v1, v10
	s_waitcnt vmcnt(8)
	v_or_b32_e32 v3, v3, v11
	v_or_b32_e32 v1, v2, v22
	v_lshlrev_b32_e32 v4, 16, v4
	v_lshlrev_b32_e32 v10, 24, v25
	s_waitcnt vmcnt(7)
	v_or_b32_e32 v5, v5, v13
	v_or_b32_e32 v2, v7, v21
	v_or_b32_e32 v3, v3, v6
	v_add_nc_u32_e32 v11, 0x6b206574, v1
	v_lshlrev_b32_e32 v6, 24, v24
	s_waitcnt vmcnt(6)
	v_or_b32_e32 v7, v4, v14
	v_or_b32_e32 v4, v5, v10
	v_add_nc_u32_e32 v10, 0x79622d32, v2
	v_xor_b32_e32 v13, v3, v11
	v_lshlrev_b32_e32 v14, 24, v23
	s_waitcnt vmcnt(5)
	v_or_b32_e32 v15, v27, v15
	v_or_b32_e32 v5, v7, v6
	v_xor_b32_e32 v7, v4, v10
	v_alignbit_b32 v13, v13, v13, 16
	v_lshrrev_b16 v21, 8, v8
	v_or_b32_e32 v6, v15, v14
	v_and_b32_e32 v22, 0xff, v8
	v_alignbit_b32 v14, v7, v7, 16
	v_add_nc_u32_e32 v15, v13, v5
	v_lshrrev_b16 v24, 8, v9
	v_and_b32_e32 v9, 0xff, v9
	s_waitcnt vmcnt(4)
	v_lshrrev_b16 v25, 8, v16
	v_add_nc_u32_e32 v23, v14, v6
	v_xor_b32_e32 v8, v15, v1
	v_and_b32_e32 v16, 0xff, v16
	s_waitcnt vmcnt(3)
	v_lshrrev_b16 v28, 8, v17
	v_and_b32_e32 v17, 0xff, v17
	v_xor_b32_e32 v26, v23, v2
	v_alignbit_b32 v27, v8, v8, 20
	v_lshlrev_b32_e32 v21, 24, v21
	v_lshlrev_b32_e32 v24, 24, v24
	v_add_nc_u32_e64 v7, 0, 64
	v_alignbit_b32 v26, v26, v26, 20
	v_add_nc_u32_e32 v8, v27, v11
	v_lshlrev_b32_e32 v11, 16, v22
	v_lshlrev_b32_e32 v22, 16, v9
	s_delay_alu instid0(VALU_DEP_4) | instskip(NEXT) | instid1(VALU_DEP_4)
	v_add_nc_u32_e32 v29, v26, v10
	v_xor_b32_e32 v9, v8, v13
	v_lshlrev_b32_e32 v13, 16, v16
	s_waitcnt vmcnt(2)
	v_or_b32_e32 v18, v11, v18
	v_lshlrev_b32_e32 v16, 24, v25
	v_xor_b32_e32 v10, v29, v14
	v_alignbit_b32 v9, v9, v9, 24
	v_lshlrev_b32_e32 v14, 16, v17
	s_waitcnt vmcnt(1)
	v_or_b32_e32 v19, v13, v19
	v_lshlrev_b32_e32 v17, 24, v28
	v_alignbit_b32 v10, v10, v10, 24
	v_add_nc_u32_e32 v11, v9, v15
	v_or_b32_e32 v15, v22, v12
	s_waitcnt vmcnt(0)
	v_or_b32_e32 v20, v14, v20
	v_or_b32_e32 v13, v18, v21
	v_add_nc_u32_e32 v12, v10, v23
	v_xor_b32_e32 v22, v11, v27
	v_or_b32_e32 v14, v15, v24
	v_or_b32_e32 v15, v19, v16
	;; [unrolled: 1-line block ×3, first 2 shown]
	v_xor_b32_e32 v21, v12, v26
	v_alignbit_b32 v16, v22, v22, 25
	v_mov_b32_e32 v22, 0
	v_add_nc_u32_e32 v18, 0x3320646e, v14
	v_add_nc_u32_e32 v19, 0x61707865, v13
	v_alignbit_b32 v20, v21, v21, 25
	v_add_nc_u32_e32 v21, v16, v29
	s_branch .LBB0_28
.LBB0_27:                               ;   in Loop: Header=BB0_28 Depth=1
	v_add_nc_u32_e32 v23, s2, v7
	s_add_u32 s2, s2, 1
	s_addc_u32 s3, s3, 0
	s_waitcnt lgkmcnt(0)
	global_load_u8 v24, v0, s[0:1]
	scratch_load_u8 v23, v23, off
	s_waitcnt vmcnt(0)
	v_xor_b32_e32 v23, v24, v23
	global_store_b8 v0, v23, s[0:1]
	s_add_u32 s0, s0, 1
	s_addc_u32 s1, s1, 0
	s_add_u32 s12, s12, -1
	s_addc_u32 s13, s13, -1
	s_delay_alu instid0(SALU_CYCLE_1)
	s_cmp_lg_u64 s[12:13], 0
	s_cbranch_scc0 .LBB0_30
.LBB0_28:                               ; =>This Inner Loop Header: Depth=1
	v_cmp_lt_u64_e64 s5, s[2:3], 64
	s_delay_alu instid0(VALU_DEP_1)
	s_and_b32 vcc_lo, exec_lo, s5
	s_cbranch_vccnz .LBB0_27
; %bb.29:                               ;   in Loop: Header=BB0_28 Depth=1
	v_xor_b32_e32 v23, s4, v18
	v_xor_b32_e32 v24, v22, v19
	v_add_co_u32 v39, s5, v22, 1
	s_delay_alu instid0(VALU_DEP_1) | instskip(NEXT) | instid1(VALU_DEP_3)
	s_cmp_lg_u32 s5, 0
	v_alignbit_b32 v23, v23, v23, 16
	s_delay_alu instid0(VALU_DEP_3) | instskip(SKIP_2) | instid1(VALU_DEP_2)
	v_alignbit_b32 v24, v24, v24, 16
	s_addc_u32 s5, s4, 0
	s_mov_b64 s[2:3], 0
	v_add_nc_u32_e32 v25, v23, v17
	s_delay_alu instid0(VALU_DEP_2) | instskip(NEXT) | instid1(VALU_DEP_2)
	v_add_nc_u32_e32 v26, v24, v15
	v_xor_b32_e32 v27, v25, v14
	s_delay_alu instid0(VALU_DEP_2) | instskip(NEXT) | instid1(VALU_DEP_2)
	v_xor_b32_e32 v28, v26, v13
	v_alignbit_b32 v27, v27, v27, 20
	s_delay_alu instid0(VALU_DEP_2) | instskip(NEXT) | instid1(VALU_DEP_2)
	v_alignbit_b32 v28, v28, v28, 20
	v_add_nc_u32_e32 v29, v27, v18
	s_delay_alu instid0(VALU_DEP_2) | instskip(NEXT) | instid1(VALU_DEP_2)
	v_add_nc_u32_e32 v30, v28, v19
	v_xor_b32_e32 v23, v29, v23
	s_delay_alu instid0(VALU_DEP_2) | instskip(SKIP_1) | instid1(VALU_DEP_3)
	v_xor_b32_e32 v24, v30, v24
	v_add_nc_u32_e32 v29, v29, v20
	v_alignbit_b32 v23, v23, v23, 24
	s_delay_alu instid0(VALU_DEP_3) | instskip(NEXT) | instid1(VALU_DEP_2)
	v_alignbit_b32 v24, v24, v24, 24
	v_add_nc_u32_e32 v25, v23, v25
	s_delay_alu instid0(VALU_DEP_2) | instskip(SKIP_2) | instid1(VALU_DEP_4)
	v_add_nc_u32_e32 v26, v24, v26
	v_xor_b32_e32 v23, v23, v21
	v_xor_b32_e32 v24, v29, v24
	;; [unrolled: 1-line block ×3, first 2 shown]
	s_delay_alu instid0(VALU_DEP_4) | instskip(NEXT) | instid1(VALU_DEP_4)
	v_xor_b32_e32 v28, v26, v28
	v_alignbit_b32 v23, v23, v23, 16
	s_delay_alu instid0(VALU_DEP_4) | instskip(NEXT) | instid1(VALU_DEP_4)
	v_alignbit_b32 v24, v24, v24, 16
	v_alignbit_b32 v27, v27, v27, 25
	s_delay_alu instid0(VALU_DEP_4) | instskip(NEXT) | instid1(VALU_DEP_4)
	v_alignbit_b32 v28, v28, v28, 25
	v_add_nc_u32_e32 v26, v23, v26
	s_delay_alu instid0(VALU_DEP_4) | instskip(NEXT) | instid1(VALU_DEP_4)
	v_add_nc_u32_e32 v31, v24, v11
	v_add_nc_u32_e32 v30, v27, v30
	s_delay_alu instid0(VALU_DEP_4) | instskip(NEXT) | instid1(VALU_DEP_4)
	v_add_nc_u32_e32 v32, v28, v8
	v_xor_b32_e32 v33, v26, v16
	s_delay_alu instid0(VALU_DEP_4) | instskip(NEXT) | instid1(VALU_DEP_4)
	v_xor_b32_e32 v34, v31, v20
	v_xor_b32_e32 v35, v30, v9
	s_delay_alu instid0(VALU_DEP_4) | instskip(NEXT) | instid1(VALU_DEP_4)
	v_xor_b32_e32 v36, v32, v10
	v_alignbit_b32 v33, v33, v33, 20
	s_delay_alu instid0(VALU_DEP_4) | instskip(NEXT) | instid1(VALU_DEP_4)
	v_alignbit_b32 v34, v34, v34, 20
	v_alignbit_b32 v35, v35, v35, 16
	s_delay_alu instid0(VALU_DEP_4) | instskip(NEXT) | instid1(VALU_DEP_4)
	v_alignbit_b32 v36, v36, v36, 16
	v_add_nc_u32_e32 v37, v33, v21
	s_delay_alu instid0(VALU_DEP_4) | instskip(NEXT) | instid1(VALU_DEP_4)
	v_add_nc_u32_e32 v29, v34, v29
	v_add_nc_u32_e32 v38, v35, v12
	s_delay_alu instid0(VALU_DEP_4) | instskip(NEXT) | instid1(VALU_DEP_4)
	v_add_nc_u32_e32 v25, v36, v25
	v_xor_b32_e32 v23, v37, v23
	s_delay_alu instid0(VALU_DEP_4) | instskip(NEXT) | instid1(VALU_DEP_4)
	v_xor_b32_e32 v24, v29, v24
	v_xor_b32_e32 v27, v38, v27
	;; [unrolled: 18-line block ×73, first 2 shown]
	s_delay_alu instid0(VALU_DEP_4) | instskip(NEXT) | instid1(VALU_DEP_4)
	v_xor_b32_e32 v36, v32, v36
	v_alignbit_b32 v33, v33, v33, 20
	s_delay_alu instid0(VALU_DEP_4) | instskip(NEXT) | instid1(VALU_DEP_4)
	v_alignbit_b32 v34, v34, v34, 20
	v_alignbit_b32 v35, v35, v35, 16
	s_delay_alu instid0(VALU_DEP_4) | instskip(NEXT) | instid1(VALU_DEP_4)
	v_alignbit_b32 v36, v36, v36, 16
	v_add_nc_u32_e32 v37, v33, v37
	s_delay_alu instid0(VALU_DEP_4) | instskip(NEXT) | instid1(VALU_DEP_4)
	v_add_nc_u32_e32 v29, v34, v29
	v_add_nc_u32_e32 v38, v35, v38
	s_delay_alu instid0(VALU_DEP_4) | instskip(NEXT) | instid1(VALU_DEP_4)
	v_add_nc_u32_e32 v40, v36, v25
	v_xor_b32_e32 v23, v37, v23
	s_delay_alu instid0(VALU_DEP_4)
	v_xor_b32_e32 v24, v29, v24
	v_add_nc_u32_e32 v25, 0x3320646e, v29
	v_add_nc_u32_e32 v29, 0x79622d32, v37
	v_xor_b32_e32 v27, v38, v27
	v_xor_b32_e32 v28, v40, v28
	v_alignbit_b32 v23, v23, v23, 24
	v_alignbit_b32 v24, v24, v24, 24
	v_lshrrev_b32_e32 v37, 8, v25
	v_lshrrev_b32_e32 v41, 16, v25
	;; [unrolled: 1-line block ×6, first 2 shown]
	v_and_b32_e32 v25, 0xff, v25
	v_and_b32_e32 v29, 0xff, v29
	v_alignbit_b32 v27, v27, v27, 20
	v_alignbit_b32 v46, v28, v28, 20
	v_add_nc_u32_e32 v28, v24, v31
	v_add_nc_u32_e32 v26, v23, v26
	v_lshlrev_b16 v31, 8, v37
	v_lshlrev_b16 v37, 8, v42
	v_and_b32_e32 v41, 0xff, v41
	v_lshlrev_b16 v42, 8, v43
	v_lshlrev_b16 v43, 8, v45
	v_and_b32_e32 v44, 0xff, v44
	v_readfirstlane_b32 s6, v23
	v_add_nc_u32_e32 v24, v24, v22
	v_mov_b32_e32 v22, v39
	v_add_nc_u32_e32 v23, v27, v30
	v_add_nc_u32_e32 v30, v46, v32
	v_xor_b32_e32 v32, v26, v33
	v_xor_b32_e32 v33, v28, v34
	v_or_b32_e32 v25, v25, v31
	v_or_b32_e32 v31, v41, v37
	v_or_b32_e32 v29, v29, v42
	v_or_b32_e32 v34, v44, v43
	s_add_i32 s6, s6, s4
	v_add_nc_u32_e32 v26, v26, v15
	s_lshr_b32 s4, s6, 8
	s_lshr_b32 s7, s6, 16
	;; [unrolled: 1-line block ×3, first 2 shown]
	v_add_nc_u32_e32 v28, v28, v5
	v_lshrrev_b32_e32 v37, 8, v24
	v_lshrrev_b32_e32 v39, 16, v24
	;; [unrolled: 1-line block ×3, first 2 shown]
	v_and_b32_e32 v42, 0xff, v24
	v_and_b32_e64 v24, 0xff, s6
	v_lshlrev_b16 v43, 8, s4
	v_lshlrev_b16 v44, 8, s8
	v_and_b32_e64 v45, 0xff, s7
	v_xor_b32_e32 v35, v23, v35
	v_xor_b32_e32 v36, v30, v36
	v_and_b32_e32 v25, 0xffff, v25
	v_lshlrev_b32_e32 v31, 16, v31
	v_and_b32_e32 v29, 0xffff, v29
	v_lshlrev_b32_e32 v34, 16, v34
	v_add_nc_u32_e32 v30, 0x6b206574, v30
	v_alignbit_b32 v32, v32, v32, 25
	v_alignbit_b32 v33, v33, v33, 25
	v_add_nc_u32_e32 v23, 0x61707865, v23
	v_lshrrev_b32_e32 v47, 8, v26
	v_lshrrev_b32_e32 v48, 16, v26
	;; [unrolled: 1-line block ×6, first 2 shown]
	v_lshlrev_b16 v37, 8, v37
	v_lshlrev_b16 v41, 8, v41
	v_and_b32_e32 v39, 0xff, v39
	v_or_b32_e32 v43, v24, v43
	v_or_b32_e32 v44, v45, v44
	v_alignbit_b32 v35, v35, v35, 24
	v_alignbit_b32 v36, v36, v36, 24
	v_or_b32_e32 v24, v25, v31
	v_or_b32_e32 v25, v29, v34
	v_lshrrev_b32_e32 v29, 8, v30
	v_lshrrev_b32_e32 v31, 16, v30
	;; [unrolled: 1-line block ×3, first 2 shown]
	v_and_b32_e32 v26, 0xff, v26
	v_and_b32_e32 v28, 0xff, v28
	v_lshrrev_b32_e32 v45, 8, v23
	v_lshrrev_b32_e32 v53, 16, v23
	;; [unrolled: 1-line block ×3, first 2 shown]
	v_and_b32_e32 v30, 0xff, v30
	v_add_nc_u32_e32 v33, v33, v2
	v_add_nc_u32_e32 v32, v32, v1
	v_lshlrev_b16 v47, 8, v47
	v_lshlrev_b16 v49, 8, v49
	v_and_b32_e32 v48, 0xff, v48
	v_lshlrev_b16 v50, 8, v50
	v_lshlrev_b16 v52, 8, v52
	v_and_b32_e32 v51, 0xff, v51
	v_or_b32_e32 v37, v42, v37
	v_or_b32_e32 v39, v39, v41
	v_and_b32_e32 v41, 0xffff, v43
	v_lshlrev_b32_e32 v42, 16, v44
	v_add_nc_u32_e32 v38, v35, v38
	v_add_nc_u32_e32 v40, v36, v40
	v_lshlrev_b16 v29, 8, v29
	v_lshlrev_b16 v34, 8, v34
	v_and_b32_e32 v31, 0xff, v31
	v_and_b32_e32 v23, 0xff, v23
	v_lshlrev_b16 v43, 8, v45
	v_lshlrev_b16 v44, 8, v54
	v_and_b32_e32 v45, 0xff, v53
	v_lshrrev_b32_e32 v53, 8, v33
	v_lshrrev_b32_e32 v54, 16, v33
	;; [unrolled: 1-line block ×6, first 2 shown]
	v_or_b32_e32 v26, v26, v47
	v_or_b32_e32 v47, v48, v49
	;; [unrolled: 1-line block ×4, first 2 shown]
	v_add_nc_u32_e32 v36, v36, v4
	v_add_nc_u32_e32 v35, v35, v3
	v_or_b32_e32 v28, v41, v42
	v_xor_b32_e32 v41, v38, v27
	v_xor_b32_e32 v42, v40, v46
	v_or_b32_e32 v29, v30, v29
	v_or_b32_e32 v30, v31, v34
	v_and_b32_e32 v33, 0xff, v33
	v_and_b32_e32 v32, 0xff, v32
	;; [unrolled: 1-line block ×3, first 2 shown]
	v_lshlrev_b32_e32 v39, 16, v39
	v_or_b32_e32 v23, v23, v43
	v_or_b32_e32 v43, v45, v44
	v_lshlrev_b16 v31, 8, v53
	v_lshlrev_b16 v34, 8, v55
	v_and_b32_e32 v44, 0xff, v54
	v_lshlrev_b16 v45, 8, v56
	v_lshlrev_b16 v46, 8, v58
	v_and_b32_e32 v50, 0xff, v57
	v_and_b32_e32 v26, 0xffff, v26
	v_lshlrev_b32_e32 v47, 16, v47
	v_add_nc_u32_e32 v40, v40, v17
	v_add_nc_u32_e32 v38, v38, v6
	v_and_b32_e32 v48, 0xffff, v48
	v_lshlrev_b32_e32 v49, 16, v49
	v_lshrrev_b32_e32 v51, 24, v36
	v_lshrrev_b32_e32 v52, 8, v35
	;; [unrolled: 1-line block ×4, first 2 shown]
	v_alignbit_b32 v41, v41, v41, 25
	v_alignbit_b32 v42, v42, v42, 25
	v_and_b32_e32 v29, 0xffff, v29
	v_lshlrev_b32_e32 v30, 16, v30
	v_or_b32_e32 v27, v37, v39
	v_lshrrev_b32_e32 v37, 8, v36
	v_lshrrev_b32_e32 v39, 16, v36
	v_and_b32_e32 v35, 0xff, v35
	v_and_b32_e32 v23, 0xffff, v23
	v_lshlrev_b32_e32 v43, 16, v43
	v_or_b32_e32 v33, v33, v31
	v_or_b32_e32 v44, v44, v34
	;; [unrolled: 1-line block ×5, first 2 shown]
	v_lshrrev_b32_e32 v46, 8, v40
	v_lshrrev_b32_e32 v47, 16, v40
	;; [unrolled: 1-line block ×6, first 2 shown]
	v_and_b32_e32 v58, 0xff, v38
	v_or_b32_e32 v34, v48, v49
	v_lshlrev_b16 v38, 8, v51
	v_lshlrev_b16 v48, 8, v52
	;; [unrolled: 1-line block ×3, first 2 shown]
	v_and_b32_e32 v51, 0xff, v53
	v_or_b32_e32 v26, v29, v30
	v_add_nc_u32_e32 v29, v42, v13
	v_add_nc_u32_e32 v30, v41, v14
	v_and_b32_e32 v36, 0xff, v36
	v_and_b32_e32 v40, 0xff, v40
	v_lshlrev_b16 v37, 8, v37
	v_and_b32_e32 v39, 0xff, v39
	v_or_b32_e32 v23, v23, v43
	v_and_b32_e32 v33, 0xffff, v33
	v_lshlrev_b32_e32 v41, 16, v44
	v_and_b32_e32 v32, 0xffff, v32
	v_lshlrev_b32_e32 v42, 16, v45
	v_lshlrev_b16 v43, 8, v46
	v_lshlrev_b16 v44, 8, v50
	v_and_b32_e32 v45, 0xff, v47
	v_lshlrev_b16 v46, 8, v55
	v_lshlrev_b16 v47, 8, v57
	v_and_b32_e32 v50, 0xff, v56
	v_or_b32_e32 v35, v35, v48
	v_or_b32_e32 v48, v51, v49
	v_lshrrev_b32_e32 v49, 8, v29
	v_lshrrev_b32_e32 v51, 16, v29
	;; [unrolled: 1-line block ×6, first 2 shown]
	v_or_b32_e32 v36, v36, v37
	v_or_b32_e32 v39, v39, v38
	v_and_b32_e32 v29, 0xff, v29
	v_and_b32_e32 v30, 0xff, v30
	v_or_b32_e32 v37, v33, v41
	v_or_b32_e32 v38, v32, v42
	;; [unrolled: 1-line block ×6, first 2 shown]
	v_and_b32_e32 v42, 0xffff, v35
	v_lshlrev_b32_e32 v43, 16, v48
	v_lshlrev_b16 v35, 8, v49
	v_lshlrev_b16 v44, 8, v52
	v_and_b32_e32 v45, 0xff, v51
	v_lshlrev_b16 v46, 8, v53
	v_lshlrev_b16 v47, 8, v55
	v_and_b32_e32 v48, 0xff, v54
	v_or_b32_e32 v29, v29, v35
	v_or_b32_e32 v35, v45, v44
	;; [unrolled: 1-line block ×3, first 2 shown]
	v_and_b32_e32 v36, 0xffff, v36
	v_or_b32_e32 v44, v48, v47
	v_lshlrev_b32_e32 v39, 16, v39
	v_and_b32_e32 v45, 0xffff, v29
	v_lshlrev_b32_e32 v35, 16, v35
	v_and_b32_e32 v30, 0xffff, v30
	;; [unrolled: 2-line block ×4, first 2 shown]
	v_lshlrev_b32_e32 v41, 16, v41
	v_or_b32_e32 v29, v36, v39
	v_or_b32_e32 v35, v45, v35
	;; [unrolled: 1-line block ×6, first 2 shown]
	s_mov_b32 s4, s5
	s_clause 0x3
	scratch_store_b128 off, v[23:26], off offset:64
	scratch_store_b128 off, v[35:38], off offset:80
	;; [unrolled: 1-line block ×4, first 2 shown]
	s_branch .LBB0_27
.LBB0_30:
	s_endpgm
	.section	.rodata,"a",@progbits
	.p2align	6, 0x0
	.amdhsa_kernel _Z15test_keystreamsPKcS0_S0_PKhPhS3_S3_S3_iii
		.amdhsa_group_segment_fixed_size 0
		.amdhsa_private_segment_fixed_size 144
		.amdhsa_kernarg_size 336
		.amdhsa_user_sgpr_count 15
		.amdhsa_user_sgpr_dispatch_ptr 0
		.amdhsa_user_sgpr_queue_ptr 0
		.amdhsa_user_sgpr_kernarg_segment_ptr 1
		.amdhsa_user_sgpr_dispatch_id 0
		.amdhsa_user_sgpr_private_segment_size 0
		.amdhsa_wavefront_size32 1
		.amdhsa_uses_dynamic_stack 0
		.amdhsa_enable_private_segment 1
		.amdhsa_system_sgpr_workgroup_id_x 1
		.amdhsa_system_sgpr_workgroup_id_y 0
		.amdhsa_system_sgpr_workgroup_id_z 0
		.amdhsa_system_sgpr_workgroup_info 0
		.amdhsa_system_vgpr_workitem_id 0
		.amdhsa_next_free_vgpr 59
		.amdhsa_next_free_sgpr 24
		.amdhsa_reserve_vcc 1
		.amdhsa_float_round_mode_32 0
		.amdhsa_float_round_mode_16_64 0
		.amdhsa_float_denorm_mode_32 3
		.amdhsa_float_denorm_mode_16_64 3
		.amdhsa_dx10_clamp 1
		.amdhsa_ieee_mode 1
		.amdhsa_fp16_overflow 0
		.amdhsa_workgroup_processor_mode 1
		.amdhsa_memory_ordered 1
		.amdhsa_forward_progress 0
		.amdhsa_shared_vgpr_count 0
		.amdhsa_exception_fp_ieee_invalid_op 0
		.amdhsa_exception_fp_denorm_src 0
		.amdhsa_exception_fp_ieee_div_zero 0
		.amdhsa_exception_fp_ieee_overflow 0
		.amdhsa_exception_fp_ieee_underflow 0
		.amdhsa_exception_fp_ieee_inexact 0
		.amdhsa_exception_int_div_zero 0
	.end_amdhsa_kernel
	.text
.Lfunc_end0:
	.size	_Z15test_keystreamsPKcS0_S0_PKhPhS3_S3_S3_iii, .Lfunc_end0-_Z15test_keystreamsPKcS0_S0_PKhPhS3_S3_S3_iii
                                        ; -- End function
	.section	.AMDGPU.csdata,"",@progbits
; Kernel info:
; codeLenInByte = 13124
; NumSgprs: 26
; NumVgprs: 59
; ScratchSize: 144
; MemoryBound: 0
; FloatMode: 240
; IeeeMode: 1
; LDSByteSize: 0 bytes/workgroup (compile time only)
; SGPRBlocks: 3
; VGPRBlocks: 7
; NumSGPRsForWavesPerEU: 26
; NumVGPRsForWavesPerEU: 59
; Occupancy: 16
; WaveLimiterHint : 1
; COMPUTE_PGM_RSRC2:SCRATCH_EN: 1
; COMPUTE_PGM_RSRC2:USER_SGPR: 15
; COMPUTE_PGM_RSRC2:TRAP_HANDLER: 0
; COMPUTE_PGM_RSRC2:TGID_X_EN: 1
; COMPUTE_PGM_RSRC2:TGID_Y_EN: 0
; COMPUTE_PGM_RSRC2:TGID_Z_EN: 0
; COMPUTE_PGM_RSRC2:TIDIG_COMP_CNT: 0
	.text
	.p2alignl 7, 3214868480
	.fill 96, 4, 3214868480
	.type	__hip_cuid_db6f4acabef3131b,@object ; @__hip_cuid_db6f4acabef3131b
	.section	.bss,"aw",@nobits
	.globl	__hip_cuid_db6f4acabef3131b
__hip_cuid_db6f4acabef3131b:
	.byte	0                               ; 0x0
	.size	__hip_cuid_db6f4acabef3131b, 1

	.ident	"AMD clang version 19.0.0git (https://github.com/RadeonOpenCompute/llvm-project roc-6.4.0 25133 c7fe45cf4b819c5991fe208aaa96edf142730f1d)"
	.section	".note.GNU-stack","",@progbits
	.addrsig
	.addrsig_sym __hip_cuid_db6f4acabef3131b
	.amdgpu_metadata
---
amdhsa.kernels:
  - .args:
      - .actual_access:  read_only
        .address_space:  global
        .offset:         0
        .size:           8
        .value_kind:     global_buffer
      - .actual_access:  read_only
        .address_space:  global
        .offset:         8
        .size:           8
        .value_kind:     global_buffer
      - .actual_access:  read_only
        .address_space:  global
        .offset:         16
        .size:           8
        .value_kind:     global_buffer
      - .actual_access:  read_only
        .address_space:  global
        .offset:         24
        .size:           8
        .value_kind:     global_buffer
      - .address_space:  global
        .offset:         32
        .size:           8
        .value_kind:     global_buffer
      - .address_space:  global
        .offset:         40
        .size:           8
        .value_kind:     global_buffer
      - .actual_access:  write_only
        .address_space:  global
        .offset:         48
        .size:           8
        .value_kind:     global_buffer
      - .address_space:  global
        .offset:         56
        .size:           8
        .value_kind:     global_buffer
      - .offset:         64
        .size:           4
        .value_kind:     by_value
      - .offset:         68
        .size:           4
        .value_kind:     by_value
      - .offset:         72
        .size:           4
        .value_kind:     by_value
      - .offset:         80
        .size:           4
        .value_kind:     hidden_block_count_x
      - .offset:         84
        .size:           4
        .value_kind:     hidden_block_count_y
      - .offset:         88
        .size:           4
        .value_kind:     hidden_block_count_z
      - .offset:         92
        .size:           2
        .value_kind:     hidden_group_size_x
      - .offset:         94
        .size:           2
        .value_kind:     hidden_group_size_y
      - .offset:         96
        .size:           2
        .value_kind:     hidden_group_size_z
      - .offset:         98
        .size:           2
        .value_kind:     hidden_remainder_x
      - .offset:         100
        .size:           2
        .value_kind:     hidden_remainder_y
      - .offset:         102
        .size:           2
        .value_kind:     hidden_remainder_z
      - .offset:         120
        .size:           8
        .value_kind:     hidden_global_offset_x
      - .offset:         128
        .size:           8
        .value_kind:     hidden_global_offset_y
      - .offset:         136
        .size:           8
        .value_kind:     hidden_global_offset_z
      - .offset:         144
        .size:           2
        .value_kind:     hidden_grid_dims
    .group_segment_fixed_size: 0
    .kernarg_segment_align: 8
    .kernarg_segment_size: 336
    .language:       OpenCL C
    .language_version:
      - 2
      - 0
    .max_flat_workgroup_size: 1024
    .name:           _Z15test_keystreamsPKcS0_S0_PKhPhS3_S3_S3_iii
    .private_segment_fixed_size: 144
    .sgpr_count:     26
    .sgpr_spill_count: 0
    .symbol:         _Z15test_keystreamsPKcS0_S0_PKhPhS3_S3_S3_iii.kd
    .uniform_work_group_size: 1
    .uses_dynamic_stack: false
    .vgpr_count:     59
    .vgpr_spill_count: 0
    .wavefront_size: 32
    .workgroup_processor_mode: 1
amdhsa.target:   amdgcn-amd-amdhsa--gfx1100
amdhsa.version:
  - 1
  - 2
...

	.end_amdgpu_metadata
